;; amdgpu-corpus repo=ROCm/rocFFT kind=compiled arch=gfx906 opt=O3
	.text
	.amdgcn_target "amdgcn-amd-amdhsa--gfx906"
	.amdhsa_code_object_version 6
	.protected	fft_rtc_fwd_len312_factors_13_4_3_2_wgs_52_tpt_26_dp_ip_CI_sbrr_dirReg ; -- Begin function fft_rtc_fwd_len312_factors_13_4_3_2_wgs_52_tpt_26_dp_ip_CI_sbrr_dirReg
	.globl	fft_rtc_fwd_len312_factors_13_4_3_2_wgs_52_tpt_26_dp_ip_CI_sbrr_dirReg
	.p2align	8
	.type	fft_rtc_fwd_len312_factors_13_4_3_2_wgs_52_tpt_26_dp_ip_CI_sbrr_dirReg,@function
fft_rtc_fwd_len312_factors_13_4_3_2_wgs_52_tpt_26_dp_ip_CI_sbrr_dirReg: ; @fft_rtc_fwd_len312_factors_13_4_3_2_wgs_52_tpt_26_dp_ip_CI_sbrr_dirReg
; %bb.0:
	s_load_dwordx2 s[2:3], s[4:5], 0x18
	s_load_dwordx4 s[8:11], s[4:5], 0x0
	s_load_dwordx2 s[14:15], s[4:5], 0x50
	v_mul_u32_u24_e32 v1, 0x9d9, v0
	v_lshrrev_b32_e32 v53, 16, v1
	s_waitcnt lgkmcnt(0)
	s_load_dwordx2 s[12:13], s[2:3], 0x0
	v_cmp_lt_u64_e64 s[0:1], s[10:11], 2
	v_mov_b32_e32 v3, 0
	v_mov_b32_e32 v1, 0
	v_lshl_add_u32 v5, s6, 1, v53
	v_mov_b32_e32 v6, v3
	s_and_b64 vcc, exec, s[0:1]
	v_mov_b32_e32 v2, 0
	s_cbranch_vccnz .LBB0_8
; %bb.1:
	s_load_dwordx2 s[0:1], s[4:5], 0x10
	s_add_u32 s6, s2, 8
	s_addc_u32 s7, s3, 0
	v_mov_b32_e32 v1, 0
	v_mov_b32_e32 v2, 0
	s_waitcnt lgkmcnt(0)
	s_add_u32 s16, s0, 8
	s_addc_u32 s17, s1, 0
	s_mov_b64 s[18:19], 1
.LBB0_2:                                ; =>This Inner Loop Header: Depth=1
	s_load_dwordx2 s[20:21], s[16:17], 0x0
                                        ; implicit-def: $vgpr7_vgpr8
	s_waitcnt lgkmcnt(0)
	v_or_b32_e32 v4, s21, v6
	v_cmp_ne_u64_e32 vcc, 0, v[3:4]
	s_and_saveexec_b64 s[0:1], vcc
	s_xor_b64 s[22:23], exec, s[0:1]
	s_cbranch_execz .LBB0_4
; %bb.3:                                ;   in Loop: Header=BB0_2 Depth=1
	v_cvt_f32_u32_e32 v4, s20
	v_cvt_f32_u32_e32 v7, s21
	s_sub_u32 s0, 0, s20
	s_subb_u32 s1, 0, s21
	v_mac_f32_e32 v4, 0x4f800000, v7
	v_rcp_f32_e32 v4, v4
	v_mul_f32_e32 v4, 0x5f7ffffc, v4
	v_mul_f32_e32 v7, 0x2f800000, v4
	v_trunc_f32_e32 v7, v7
	v_mac_f32_e32 v4, 0xcf800000, v7
	v_cvt_u32_f32_e32 v7, v7
	v_cvt_u32_f32_e32 v4, v4
	v_mul_lo_u32 v8, s0, v7
	v_mul_hi_u32 v9, s0, v4
	v_mul_lo_u32 v11, s1, v4
	v_mul_lo_u32 v10, s0, v4
	v_add_u32_e32 v8, v9, v8
	v_add_u32_e32 v8, v8, v11
	v_mul_hi_u32 v9, v4, v10
	v_mul_lo_u32 v11, v4, v8
	v_mul_hi_u32 v13, v4, v8
	v_mul_hi_u32 v12, v7, v10
	v_mul_lo_u32 v10, v7, v10
	v_mul_hi_u32 v14, v7, v8
	v_add_co_u32_e32 v9, vcc, v9, v11
	v_addc_co_u32_e32 v11, vcc, 0, v13, vcc
	v_mul_lo_u32 v8, v7, v8
	v_add_co_u32_e32 v9, vcc, v9, v10
	v_addc_co_u32_e32 v9, vcc, v11, v12, vcc
	v_addc_co_u32_e32 v10, vcc, 0, v14, vcc
	v_add_co_u32_e32 v8, vcc, v9, v8
	v_addc_co_u32_e32 v9, vcc, 0, v10, vcc
	v_add_co_u32_e32 v4, vcc, v4, v8
	v_addc_co_u32_e32 v7, vcc, v7, v9, vcc
	v_mul_lo_u32 v8, s0, v7
	v_mul_hi_u32 v9, s0, v4
	v_mul_lo_u32 v10, s1, v4
	v_mul_lo_u32 v11, s0, v4
	v_add_u32_e32 v8, v9, v8
	v_add_u32_e32 v8, v8, v10
	v_mul_lo_u32 v12, v4, v8
	v_mul_hi_u32 v13, v4, v11
	v_mul_hi_u32 v14, v4, v8
	v_mul_hi_u32 v10, v7, v11
	v_mul_lo_u32 v11, v7, v11
	v_mul_hi_u32 v9, v7, v8
	v_add_co_u32_e32 v12, vcc, v13, v12
	v_addc_co_u32_e32 v13, vcc, 0, v14, vcc
	v_mul_lo_u32 v8, v7, v8
	v_add_co_u32_e32 v11, vcc, v12, v11
	v_addc_co_u32_e32 v10, vcc, v13, v10, vcc
	v_addc_co_u32_e32 v9, vcc, 0, v9, vcc
	v_add_co_u32_e32 v8, vcc, v10, v8
	v_addc_co_u32_e32 v9, vcc, 0, v9, vcc
	v_add_co_u32_e32 v4, vcc, v4, v8
	v_addc_co_u32_e32 v9, vcc, v7, v9, vcc
	v_mad_u64_u32 v[7:8], s[0:1], v5, v9, 0
	v_mul_hi_u32 v10, v5, v4
	v_add_co_u32_e32 v11, vcc, v10, v7
	v_addc_co_u32_e32 v12, vcc, 0, v8, vcc
	v_mad_u64_u32 v[7:8], s[0:1], v6, v4, 0
	v_mad_u64_u32 v[9:10], s[0:1], v6, v9, 0
	v_add_co_u32_e32 v4, vcc, v11, v7
	v_addc_co_u32_e32 v4, vcc, v12, v8, vcc
	v_addc_co_u32_e32 v7, vcc, 0, v10, vcc
	v_add_co_u32_e32 v4, vcc, v4, v9
	v_addc_co_u32_e32 v9, vcc, 0, v7, vcc
	v_mul_lo_u32 v10, s21, v4
	v_mul_lo_u32 v11, s20, v9
	v_mad_u64_u32 v[7:8], s[0:1], s20, v4, 0
	v_add3_u32 v8, v8, v11, v10
	v_sub_u32_e32 v10, v6, v8
	v_mov_b32_e32 v11, s21
	v_sub_co_u32_e32 v7, vcc, v5, v7
	v_subb_co_u32_e64 v10, s[0:1], v10, v11, vcc
	v_subrev_co_u32_e64 v11, s[0:1], s20, v7
	v_subbrev_co_u32_e64 v10, s[0:1], 0, v10, s[0:1]
	v_cmp_le_u32_e64 s[0:1], s21, v10
	v_cndmask_b32_e64 v12, 0, -1, s[0:1]
	v_cmp_le_u32_e64 s[0:1], s20, v11
	v_cndmask_b32_e64 v11, 0, -1, s[0:1]
	v_cmp_eq_u32_e64 s[0:1], s21, v10
	v_cndmask_b32_e64 v10, v12, v11, s[0:1]
	v_add_co_u32_e64 v11, s[0:1], 2, v4
	v_addc_co_u32_e64 v12, s[0:1], 0, v9, s[0:1]
	v_add_co_u32_e64 v13, s[0:1], 1, v4
	v_addc_co_u32_e64 v14, s[0:1], 0, v9, s[0:1]
	v_subb_co_u32_e32 v8, vcc, v6, v8, vcc
	v_cmp_ne_u32_e64 s[0:1], 0, v10
	v_cmp_le_u32_e32 vcc, s21, v8
	v_cndmask_b32_e64 v10, v14, v12, s[0:1]
	v_cndmask_b32_e64 v12, 0, -1, vcc
	v_cmp_le_u32_e32 vcc, s20, v7
	v_cndmask_b32_e64 v7, 0, -1, vcc
	v_cmp_eq_u32_e32 vcc, s21, v8
	v_cndmask_b32_e32 v7, v12, v7, vcc
	v_cmp_ne_u32_e32 vcc, 0, v7
	v_cndmask_b32_e64 v7, v13, v11, s[0:1]
	v_cndmask_b32_e32 v8, v9, v10, vcc
	v_cndmask_b32_e32 v7, v4, v7, vcc
.LBB0_4:                                ;   in Loop: Header=BB0_2 Depth=1
	s_andn2_saveexec_b64 s[0:1], s[22:23]
	s_cbranch_execz .LBB0_6
; %bb.5:                                ;   in Loop: Header=BB0_2 Depth=1
	v_cvt_f32_u32_e32 v4, s20
	s_sub_i32 s22, 0, s20
	v_rcp_iflag_f32_e32 v4, v4
	v_mul_f32_e32 v4, 0x4f7ffffe, v4
	v_cvt_u32_f32_e32 v4, v4
	v_mul_lo_u32 v7, s22, v4
	v_mul_hi_u32 v7, v4, v7
	v_add_u32_e32 v4, v4, v7
	v_mul_hi_u32 v4, v5, v4
	v_mul_lo_u32 v7, v4, s20
	v_add_u32_e32 v8, 1, v4
	v_sub_u32_e32 v7, v5, v7
	v_subrev_u32_e32 v9, s20, v7
	v_cmp_le_u32_e32 vcc, s20, v7
	v_cndmask_b32_e32 v7, v7, v9, vcc
	v_cndmask_b32_e32 v4, v4, v8, vcc
	v_add_u32_e32 v8, 1, v4
	v_cmp_le_u32_e32 vcc, s20, v7
	v_cndmask_b32_e32 v7, v4, v8, vcc
	v_mov_b32_e32 v8, v3
.LBB0_6:                                ;   in Loop: Header=BB0_2 Depth=1
	s_or_b64 exec, exec, s[0:1]
	v_mul_lo_u32 v4, v8, s20
	v_mul_lo_u32 v11, v7, s21
	v_mad_u64_u32 v[9:10], s[0:1], v7, s20, 0
	s_load_dwordx2 s[0:1], s[6:7], 0x0
	s_add_u32 s18, s18, 1
	v_add3_u32 v4, v10, v11, v4
	v_sub_co_u32_e32 v5, vcc, v5, v9
	v_subb_co_u32_e32 v4, vcc, v6, v4, vcc
	s_waitcnt lgkmcnt(0)
	v_mul_lo_u32 v4, s0, v4
	v_mul_lo_u32 v6, s1, v5
	v_mad_u64_u32 v[1:2], s[0:1], s0, v5, v[1:2]
	s_addc_u32 s19, s19, 0
	s_add_u32 s6, s6, 8
	v_add3_u32 v2, v6, v2, v4
	v_mov_b32_e32 v4, s10
	v_mov_b32_e32 v5, s11
	s_addc_u32 s7, s7, 0
	v_cmp_ge_u64_e32 vcc, s[18:19], v[4:5]
	s_add_u32 s16, s16, 8
	s_addc_u32 s17, s17, 0
	s_cbranch_vccnz .LBB0_9
; %bb.7:                                ;   in Loop: Header=BB0_2 Depth=1
	v_mov_b32_e32 v5, v7
	v_mov_b32_e32 v6, v8
	s_branch .LBB0_2
.LBB0_8:
	v_mov_b32_e32 v8, v6
	v_mov_b32_e32 v7, v5
.LBB0_9:
	s_lshl_b64 s[0:1], s[10:11], 3
	s_add_u32 s0, s2, s0
	s_addc_u32 s1, s3, s1
	s_load_dwordx2 s[2:3], s[0:1], 0x0
	s_load_dwordx2 s[6:7], s[4:5], 0x20
                                        ; implicit-def: $vgpr34_vgpr35
                                        ; implicit-def: $vgpr42_vgpr43
                                        ; implicit-def: $vgpr38_vgpr39
                                        ; implicit-def: $vgpr10_vgpr11
                                        ; implicit-def: $vgpr26_vgpr27
                                        ; implicit-def: $vgpr22_vgpr23
                                        ; implicit-def: $vgpr14_vgpr15
                                        ; implicit-def: $vgpr30_vgpr31
                                        ; implicit-def: $vgpr18_vgpr19
                                        ; implicit-def: $vgpr46_vgpr47
                                        ; implicit-def: $vgpr50_vgpr51
	s_waitcnt lgkmcnt(0)
	v_mad_u64_u32 v[1:2], s[0:1], s2, v7, v[1:2]
	s_mov_b32 s0, 0x9d89d8a
	v_mul_lo_u32 v3, s2, v8
	v_mul_lo_u32 v4, s3, v7
	v_mul_hi_u32 v5, v0, s0
	v_cmp_gt_u64_e32 vcc, s[6:7], v[7:8]
                                        ; implicit-def: $vgpr6_vgpr7
	v_add3_u32 v2, v4, v2, v3
	v_mul_u32_u24_e32 v3, 26, v5
	v_sub_u32_e32 v52, v0, v3
	v_cmp_gt_u32_e64 s[0:1], 24, v52
	v_lshlrev_b64 v[54:55], 4, v[1:2]
	s_and_b64 s[2:3], vcc, s[0:1]
                                        ; implicit-def: $vgpr2_vgpr3
	s_and_saveexec_b64 s[4:5], s[2:3]
	s_cbranch_execz .LBB0_11
; %bb.10:
	v_mad_u64_u32 v[0:1], s[2:3], s12, v52, 0
	v_add_u32_e32 v5, 24, v52
	v_mov_b32_e32 v4, s15
	v_mad_u64_u32 v[1:2], s[2:3], s13, v52, v[1:2]
	v_mad_u64_u32 v[2:3], s[2:3], s12, v5, 0
	v_add_co_u32_e64 v8, s[2:3], s14, v54
	v_addc_co_u32_e64 v9, s[2:3], v4, v55, s[2:3]
	v_mad_u64_u32 v[3:4], s[2:3], s13, v5, v[3:4]
	v_add_u32_e32 v6, 48, v52
	v_mad_u64_u32 v[4:5], s[2:3], s12, v6, 0
	v_lshlrev_b64 v[0:1], 4, v[0:1]
	v_add_co_u32_e64 v56, s[2:3], v8, v0
	v_addc_co_u32_e64 v57, s[2:3], v9, v1, s[2:3]
	v_lshlrev_b64 v[0:1], 4, v[2:3]
	v_mov_b32_e32 v2, v5
	v_mad_u64_u32 v[2:3], s[2:3], s13, v6, v[2:3]
	v_add_u32_e32 v3, 0x48, v52
	v_mad_u64_u32 v[6:7], s[2:3], s12, v3, 0
	v_add_co_u32_e64 v58, s[2:3], v8, v0
	v_mov_b32_e32 v5, v2
	v_mov_b32_e32 v2, v7
	v_addc_co_u32_e64 v59, s[2:3], v9, v1, s[2:3]
	v_lshlrev_b64 v[0:1], 4, v[4:5]
	v_mad_u64_u32 v[2:3], s[2:3], s13, v3, v[2:3]
	v_or_b32_e32 v5, 0x60, v52
	v_mad_u64_u32 v[3:4], s[2:3], s12, v5, 0
	v_add_co_u32_e64 v60, s[2:3], v8, v0
	v_mov_b32_e32 v7, v2
	v_mov_b32_e32 v2, v4
	v_addc_co_u32_e64 v61, s[2:3], v9, v1, s[2:3]
	v_lshlrev_b64 v[0:1], 4, v[6:7]
	v_mad_u64_u32 v[4:5], s[2:3], s13, v5, v[2:3]
	v_add_u32_e32 v7, 0x78, v52
	v_mad_u64_u32 v[5:6], s[2:3], s12, v7, 0
	v_add_co_u32_e64 v62, s[2:3], v8, v0
	v_mov_b32_e32 v2, v6
	v_addc_co_u32_e64 v63, s[2:3], v9, v1, s[2:3]
	v_lshlrev_b64 v[0:1], 4, v[3:4]
	v_mad_u64_u32 v[2:3], s[2:3], s13, v7, v[2:3]
	v_add_u32_e32 v7, 0x90, v52
	v_mad_u64_u32 v[3:4], s[2:3], s12, v7, 0
	v_add_co_u32_e64 v64, s[2:3], v8, v0
	v_mov_b32_e32 v6, v2
	v_mov_b32_e32 v2, v4
	v_addc_co_u32_e64 v65, s[2:3], v9, v1, s[2:3]
	v_lshlrev_b64 v[0:1], 4, v[5:6]
	v_mad_u64_u32 v[4:5], s[2:3], s13, v7, v[2:3]
	v_add_u32_e32 v7, 0xa8, v52
	v_mad_u64_u32 v[5:6], s[2:3], s12, v7, 0
	v_add_co_u32_e64 v66, s[2:3], v8, v0
	v_mov_b32_e32 v2, v6
	v_addc_co_u32_e64 v67, s[2:3], v9, v1, s[2:3]
	v_lshlrev_b64 v[0:1], 4, v[3:4]
	v_mad_u64_u32 v[2:3], s[2:3], s13, v7, v[2:3]
	v_or_b32_e32 v7, 0xc0, v52
	v_mad_u64_u32 v[3:4], s[2:3], s12, v7, 0
	v_add_co_u32_e64 v68, s[2:3], v8, v0
	v_mov_b32_e32 v6, v2
	v_mov_b32_e32 v2, v4
	v_addc_co_u32_e64 v69, s[2:3], v9, v1, s[2:3]
	v_lshlrev_b64 v[0:1], 4, v[5:6]
	v_mad_u64_u32 v[4:5], s[2:3], s13, v7, v[2:3]
	v_add_u32_e32 v7, 0xd8, v52
	v_mad_u64_u32 v[5:6], s[2:3], s12, v7, 0
	v_add_co_u32_e64 v70, s[2:3], v8, v0
	v_mov_b32_e32 v2, v6
	v_addc_co_u32_e64 v71, s[2:3], v9, v1, s[2:3]
	v_lshlrev_b64 v[0:1], 4, v[3:4]
	v_mad_u64_u32 v[2:3], s[2:3], s13, v7, v[2:3]
	v_add_u32_e32 v7, 0xf0, v52
	v_mad_u64_u32 v[3:4], s[2:3], s12, v7, 0
	v_add_co_u32_e64 v72, s[2:3], v8, v0
	v_mov_b32_e32 v6, v2
	v_mov_b32_e32 v2, v4
	v_addc_co_u32_e64 v73, s[2:3], v9, v1, s[2:3]
	v_lshlrev_b64 v[0:1], 4, v[5:6]
	v_mad_u64_u32 v[4:5], s[2:3], s13, v7, v[2:3]
	v_add_u32_e32 v7, 0x108, v52
	v_mad_u64_u32 v[5:6], s[2:3], s12, v7, 0
	v_add_co_u32_e64 v74, s[2:3], v8, v0
	v_mov_b32_e32 v2, v6
	v_addc_co_u32_e64 v75, s[2:3], v9, v1, s[2:3]
	v_lshlrev_b64 v[0:1], 4, v[3:4]
	v_mad_u64_u32 v[2:3], s[2:3], s13, v7, v[2:3]
	v_or_b32_e32 v7, 0x120, v52
	v_mad_u64_u32 v[3:4], s[2:3], s12, v7, 0
	v_add_co_u32_e64 v76, s[2:3], v8, v0
	v_mov_b32_e32 v6, v2
	v_mov_b32_e32 v2, v4
	v_addc_co_u32_e64 v77, s[2:3], v9, v1, s[2:3]
	v_lshlrev_b64 v[0:1], 4, v[5:6]
	v_mad_u64_u32 v[4:5], s[2:3], s13, v7, v[2:3]
	v_add_co_u32_e64 v78, s[2:3], v8, v0
	v_addc_co_u32_e64 v79, s[2:3], v9, v1, s[2:3]
	v_lshlrev_b64 v[0:1], 4, v[3:4]
	v_add_co_u32_e64 v80, s[2:3], v8, v0
	v_addc_co_u32_e64 v81, s[2:3], v9, v1, s[2:3]
	global_load_dwordx4 v[0:3], v[56:57], off
	global_load_dwordx4 v[32:35], v[58:59], off
	;; [unrolled: 1-line block ×13, first 2 shown]
.LBB0_11:
	s_or_b64 exec, exec, s[4:5]
	v_and_b32_e32 v53, 1, v53
	v_mov_b32_e32 v56, 0x138
	v_cmp_eq_u32_e64 s[2:3], 1, v53
	v_cndmask_b32_e64 v53, 0, v56, s[2:3]
	s_and_saveexec_b64 s[2:3], s[0:1]
	s_cbranch_execz .LBB0_13
; %bb.12:
	s_waitcnt vmcnt(11)
	v_add_f64 v[56:57], v[34:35], v[2:3]
	v_add_f64 v[68:69], v[32:33], v[0:1]
	s_waitcnt vmcnt(3)
	v_add_f64 v[80:81], v[44:45], -v[24:25]
	v_add_f64 v[72:73], v[36:37], -v[28:29]
	v_add_f64 v[64:65], v[36:37], v[28:29]
	s_mov_b32 s4, 0x4bc48dbf
	s_mov_b32 s5, 0xbfcea1e5
	v_add_f64 v[60:61], v[8:9], -v[16:17]
	v_add_f64 v[74:75], v[42:43], v[56:57]
	v_add_f64 v[84:85], v[40:41], v[68:69]
	;; [unrolled: 1-line block ×5, first 2 shown]
	v_add_f64 v[70:71], v[38:39], -v[30:31]
	s_waitcnt vmcnt(2)
	v_add_f64 v[76:77], v[22:23], v[50:51]
	v_add_f64 v[82:83], v[48:49], -v[20:21]
	v_add_f64 v[86:87], v[50:51], v[74:75]
	v_add_f64 v[88:89], v[48:49], v[84:85]
	s_waitcnt vmcnt(0)
	v_add_f64 v[84:85], v[32:33], -v[4:5]
	v_add_f64 v[74:75], v[20:21], v[48:49]
	v_add_f64 v[48:49], v[50:51], -v[22:23]
	v_add_f64 v[50:51], v[40:41], -v[12:13]
	s_mov_b32 s0, 0x93053d00
	s_mov_b32 s27, 0x3fddbe06
	v_add_f64 v[86:87], v[46:47], v[86:87]
	v_add_f64 v[44:45], v[44:45], v[88:89]
	s_mov_b32 s26, 0x4267c47c
	s_mov_b32 s1, 0xbfef11f4
	v_add_f64 v[66:67], v[26:27], v[46:47]
	v_add_f64 v[78:79], v[46:47], -v[26:27]
	v_add_f64 v[46:47], v[42:43], v[14:15]
	v_add_f64 v[42:43], v[42:43], -v[14:15]
	v_add_f64 v[86:87], v[38:39], v[86:87]
	v_add_f64 v[36:37], v[36:37], v[44:45]
	;; [unrolled: 1-line block ×3, first 2 shown]
	v_add_f64 v[34:35], v[34:35], -v[6:7]
	v_add_f64 v[32:33], v[32:33], v[4:5]
	s_mov_b32 s6, 0xe00740e9
	s_mov_b32 s16, 0x24c2f84
	;; [unrolled: 1-line block ×3, first 2 shown]
	v_add_f64 v[44:45], v[10:11], v[86:87]
	v_mul_f64 v[86:87], v[84:85], s[4:5]
	v_add_f64 v[8:9], v[8:9], v[36:37]
	v_mul_f64 v[88:89], v[34:35], s[4:5]
	s_mov_b32 s17, 0xbfe5384d
	v_add_f64 v[40:41], v[40:41], v[12:13]
	s_mov_b32 s10, 0xd0032e0c
	s_mov_b32 s38, 0x42a4c3d2
	v_add_f64 v[36:37], v[18:19], v[44:45]
	v_mul_f64 v[44:45], v[50:51], s[26:27]
	v_fma_f64 v[90:91], v[38:39], s[0:1], -v[86:87]
	v_add_f64 v[8:9], v[16:17], v[8:9]
	v_fma_f64 v[94:95], v[32:33], s[0:1], v[88:89]
	s_mov_b32 s11, 0xbfe7f3cc
	s_mov_b32 s39, 0x3fea55e2
	;; [unrolled: 1-line block ×3, first 2 shown]
	v_add_f64 v[16:17], v[30:31], v[36:37]
	v_mul_f64 v[30:31], v[42:43], s[26:27]
	v_mul_f64 v[36:37], v[82:83], s[16:17]
	v_fma_f64 v[92:93], v[46:47], s[6:7], -v[44:45]
	v_add_f64 v[90:91], v[90:91], v[2:3]
	v_add_f64 v[8:9], v[28:29], v[8:9]
	v_mul_f64 v[28:29], v[48:49], s[16:17]
	s_mov_b32 s22, 0x2ef20147
	v_add_f64 v[16:17], v[26:27], v[16:17]
	v_mul_f64 v[26:27], v[80:81], s[38:39]
	v_fma_f64 v[96:97], v[40:41], s[6:7], v[30:31]
	v_fma_f64 v[98:99], v[76:77], s[10:11], -v[36:37]
	v_add_f64 v[90:91], v[92:93], v[90:91]
	v_add_f64 v[92:93], v[94:95], v[0:1]
	;; [unrolled: 1-line block ×3, first 2 shown]
	s_mov_b32 s19, 0x3fe22d96
	v_add_f64 v[16:17], v[22:23], v[16:17]
	s_mov_b32 s23, 0xbfedeba7
	v_mul_f64 v[22:23], v[78:79], s[38:39]
	v_fma_f64 v[24:25], v[66:67], s[18:19], -v[26:27]
	v_add_f64 v[90:91], v[98:99], v[90:91]
	v_fma_f64 v[94:95], v[74:75], s[10:11], v[28:29]
	v_add_f64 v[92:93], v[96:97], v[92:93]
	v_add_f64 v[8:9], v[20:21], v[8:9]
	;; [unrolled: 1-line block ×3, first 2 shown]
	v_mul_f64 v[16:17], v[72:73], s[22:23]
	v_fma_f64 v[20:21], v[38:39], s[0:1], v[86:87]
	s_mov_b32 s20, 0xb2365da1
	s_mov_b32 s21, 0xbfd6b1d8
	v_add_f64 v[58:59], v[10:11], v[18:19]
	v_add_f64 v[24:25], v[24:25], v[90:91]
	;; [unrolled: 1-line block ×3, first 2 shown]
	v_fma_f64 v[90:91], v[68:69], s[18:19], v[22:23]
	v_mul_f64 v[92:93], v[70:71], s[22:23]
	v_fma_f64 v[94:95], v[62:63], s[20:21], -v[16:17]
	v_fma_f64 v[44:45], v[46:47], s[6:7], v[44:45]
	v_add_f64 v[96:97], v[20:21], v[2:3]
	v_add_f64 v[20:21], v[10:11], -v[18:19]
	v_fma_f64 v[18:19], v[32:33], s[0:1], -v[88:89]
	v_add_f64 v[8:9], v[12:13], v[8:9]
	v_add_f64 v[10:11], v[90:91], v[86:87]
	v_fma_f64 v[86:87], v[64:65], s[20:21], v[92:93]
	v_add_f64 v[6:7], v[6:7], v[14:15]
	v_add_f64 v[12:13], v[94:95], v[24:25]
	;; [unrolled: 1-line block ×3, first 2 shown]
	v_fma_f64 v[24:25], v[76:77], s[10:11], v[36:37]
	v_fma_f64 v[30:31], v[40:41], s[6:7], -v[30:31]
	v_add_f64 v[18:19], v[18:19], v[0:1]
	s_mov_b32 s28, 0x66966769
	s_mov_b32 s29, 0x3fefc445
	v_add_f64 v[36:37], v[86:87], v[10:11]
	v_mul_f64 v[44:45], v[60:61], s[28:29]
	v_mul_f64 v[86:87], v[20:21], s[28:29]
	v_add_f64 v[10:11], v[24:25], v[14:15]
	v_fma_f64 v[14:15], v[66:67], s[18:19], v[26:27]
	v_add_f64 v[18:19], v[30:31], v[18:19]
	v_fma_f64 v[24:25], v[74:75], s[10:11], -v[28:29]
	v_mul_f64 v[26:27], v[84:85], s[16:17]
	s_mov_b32 s24, 0xebaa3ed8
	s_mov_b32 s25, 0x3fbedb7d
	v_fma_f64 v[28:29], v[58:59], s[24:25], -v[44:45]
	v_fma_f64 v[30:31], v[56:57], s[24:25], v[86:87]
	v_add_f64 v[14:15], v[14:15], v[10:11]
	v_fma_f64 v[16:17], v[62:63], s[20:21], v[16:17]
	v_add_f64 v[18:19], v[24:25], v[18:19]
	v_fma_f64 v[22:23], v[68:69], s[18:19], -v[22:23]
	v_fma_f64 v[24:25], v[38:39], s[10:11], -v[26:27]
	v_mul_f64 v[88:89], v[50:51], s[28:29]
	v_mul_f64 v[90:91], v[34:35], s[16:17]
	s_mov_b32 s31, 0xbfea55e2
	s_mov_b32 s30, s38
	v_add_f64 v[4:5], v[4:5], v[8:9]
	v_add_f64 v[10:11], v[28:29], v[12:13]
	;; [unrolled: 1-line block ×5, first 2 shown]
	v_fma_f64 v[16:17], v[64:65], s[20:21], -v[92:93]
	v_add_f64 v[18:19], v[24:25], v[2:3]
	v_fma_f64 v[22:23], v[46:47], s[24:25], -v[88:89]
	v_mul_f64 v[30:31], v[82:83], s[30:31]
	v_fma_f64 v[24:25], v[32:33], s[10:11], v[90:91]
	v_mul_f64 v[28:29], v[42:43], s[28:29]
	v_fma_f64 v[36:37], v[56:57], s[24:25], -v[86:87]
	v_mul_f64 v[86:87], v[48:49], s[30:31]
	v_add_f64 v[16:17], v[16:17], v[14:15]
	v_fma_f64 v[14:15], v[58:59], s[24:25], v[44:45]
	v_add_f64 v[18:19], v[22:23], v[18:19]
	v_fma_f64 v[22:23], v[76:77], s[18:19], -v[30:31]
	v_add_f64 v[24:25], v[24:25], v[0:1]
	v_fma_f64 v[44:45], v[40:41], s[24:25], v[28:29]
	s_mov_b32 s41, 0x3fcea1e5
	s_mov_b32 s40, s4
	v_mul_f64 v[92:93], v[80:81], s[40:41]
	v_add_f64 v[14:15], v[14:15], v[12:13]
	v_add_f64 v[12:13], v[36:37], v[16:17]
	;; [unrolled: 1-line block ×3, first 2 shown]
	v_fma_f64 v[18:19], v[38:39], s[10:11], v[26:27]
	v_fma_f64 v[26:27], v[32:33], s[10:11], -v[90:91]
	v_add_f64 v[24:25], v[44:45], v[24:25]
	v_fma_f64 v[44:45], v[74:75], s[18:19], v[86:87]
	v_mul_f64 v[94:95], v[78:79], s[40:41]
	v_fma_f64 v[22:23], v[66:67], s[0:1], -v[92:93]
	v_mul_f64 v[36:37], v[72:73], s[26:27]
	v_fma_f64 v[88:89], v[46:47], s[24:25], v[88:89]
	v_add_f64 v[18:19], v[18:19], v[2:3]
	v_fma_f64 v[28:29], v[40:41], s[24:25], -v[28:29]
	v_add_f64 v[26:27], v[26:27], v[0:1]
	v_add_f64 v[24:25], v[44:45], v[24:25]
	v_fma_f64 v[44:45], v[68:69], s[0:1], v[94:95]
	v_mul_f64 v[90:91], v[70:71], s[26:27]
	v_add_f64 v[16:17], v[22:23], v[16:17]
	v_fma_f64 v[22:23], v[62:63], s[6:7], -v[36:37]
	v_add_f64 v[18:19], v[88:89], v[18:19]
	v_fma_f64 v[30:31], v[76:77], s[18:19], v[30:31]
	v_add_f64 v[26:27], v[28:29], v[26:27]
	v_fma_f64 v[28:29], v[74:75], s[18:19], -v[86:87]
	v_mul_f64 v[86:87], v[84:85], s[22:23]
	v_add_f64 v[24:25], v[44:45], v[24:25]
	v_fma_f64 v[44:45], v[64:65], s[6:7], v[90:91]
	v_mul_f64 v[96:97], v[60:61], s[22:23]
	s_mov_b32 s37, 0x3fe5384d
	s_mov_b32 s36, s16
	v_add_f64 v[16:17], v[22:23], v[16:17]
	v_mul_f64 v[22:23], v[20:21], s[22:23]
	v_add_f64 v[18:19], v[30:31], v[18:19]
	v_fma_f64 v[30:31], v[66:67], s[0:1], v[92:93]
	v_add_f64 v[26:27], v[28:29], v[26:27]
	v_fma_f64 v[28:29], v[68:69], s[0:1], -v[94:95]
	v_fma_f64 v[92:93], v[38:39], s[20:21], -v[86:87]
	v_mul_f64 v[94:95], v[50:51], s[36:37]
	v_add_f64 v[24:25], v[44:45], v[24:25]
	v_fma_f64 v[44:45], v[58:59], s[20:21], -v[96:97]
	v_fma_f64 v[88:89], v[56:57], s[20:21], v[22:23]
	v_add_f64 v[30:31], v[30:31], v[18:19]
	v_fma_f64 v[36:37], v[62:63], s[6:7], v[36:37]
	v_add_f64 v[26:27], v[28:29], v[26:27]
	v_fma_f64 v[28:29], v[64:65], s[6:7], -v[90:91]
	v_add_f64 v[90:91], v[92:93], v[2:3]
	v_fma_f64 v[92:93], v[46:47], s[10:11], -v[94:95]
	v_mul_f64 v[98:99], v[82:83], s[26:27]
	v_add_f64 v[18:19], v[44:45], v[16:17]
	v_mul_f64 v[44:45], v[34:35], s[22:23]
	s_mov_b32 s35, 0xbfefc445
	s_mov_b32 s34, s28
	v_add_f64 v[16:17], v[88:89], v[24:25]
	v_add_f64 v[24:25], v[36:37], v[30:31]
	;; [unrolled: 1-line block ×3, first 2 shown]
	v_fma_f64 v[28:29], v[58:59], s[20:21], v[96:97]
	v_add_f64 v[88:89], v[92:93], v[90:91]
	v_fma_f64 v[90:91], v[76:77], s[6:7], -v[98:99]
	v_mul_f64 v[92:93], v[80:81], s[34:35]
	v_fma_f64 v[30:31], v[32:33], s[20:21], v[44:45]
	v_mul_f64 v[36:37], v[42:43], s[36:37]
	v_fma_f64 v[86:87], v[38:39], s[20:21], v[86:87]
	v_fma_f64 v[44:45], v[32:33], s[20:21], -v[44:45]
	v_add_f64 v[24:25], v[28:29], v[24:25]
	v_mul_f64 v[100:101], v[48:49], s[26:27]
	v_add_f64 v[28:29], v[90:91], v[88:89]
	v_fma_f64 v[88:89], v[66:67], s[24:25], -v[92:93]
	v_mul_f64 v[90:91], v[72:73], s[40:41]
	v_add_f64 v[30:31], v[30:31], v[0:1]
	v_fma_f64 v[96:97], v[40:41], s[10:11], v[36:37]
	v_fma_f64 v[22:23], v[56:57], s[20:21], -v[22:23]
	v_fma_f64 v[94:95], v[46:47], s[10:11], v[94:95]
	v_add_f64 v[86:87], v[86:87], v[2:3]
	v_fma_f64 v[36:37], v[40:41], s[10:11], -v[36:37]
	v_add_f64 v[44:45], v[44:45], v[0:1]
	v_add_f64 v[28:29], v[88:89], v[28:29]
	v_fma_f64 v[88:89], v[62:63], s[0:1], -v[90:91]
	v_add_f64 v[30:31], v[96:97], v[30:31]
	v_fma_f64 v[96:97], v[74:75], s[6:7], v[100:101]
	v_mul_f64 v[102:103], v[78:79], s[34:35]
	v_add_f64 v[22:23], v[22:23], v[26:27]
	v_add_f64 v[26:27], v[94:95], v[86:87]
	v_fma_f64 v[86:87], v[76:77], s[6:7], v[98:99]
	v_add_f64 v[36:37], v[36:37], v[44:45]
	v_fma_f64 v[44:45], v[74:75], s[6:7], -v[100:101]
	v_add_f64 v[28:29], v[88:89], v[28:29]
	v_mul_f64 v[88:89], v[84:85], s[34:35]
	v_add_f64 v[30:31], v[96:97], v[30:31]
	v_fma_f64 v[96:97], v[68:69], s[24:25], v[102:103]
	v_mul_f64 v[98:99], v[50:51], s[4:5]
	v_add_f64 v[26:27], v[86:87], v[26:27]
	v_fma_f64 v[86:87], v[66:67], s[24:25], v[92:93]
	v_add_f64 v[36:37], v[44:45], v[36:37]
	v_fma_f64 v[44:45], v[68:69], s[24:25], -v[102:103]
	v_fma_f64 v[92:93], v[38:39], s[24:25], -v[88:89]
	v_mul_f64 v[104:105], v[20:21], s[38:39]
	v_add_f64 v[30:31], v[96:97], v[30:31]
	v_mul_f64 v[96:97], v[60:61], s[38:39]
	s_mov_b32 s39, 0x3fedeba7
	s_mov_b32 s38, s22
	v_mul_f64 v[94:95], v[70:71], s[40:41]
	v_add_f64 v[26:27], v[86:87], v[26:27]
	v_fma_f64 v[86:87], v[62:63], s[0:1], v[90:91]
	v_add_f64 v[36:37], v[44:45], v[36:37]
	v_add_f64 v[44:45], v[92:93], v[2:3]
	v_fma_f64 v[90:91], v[46:47], s[0:1], -v[98:99]
	v_mul_f64 v[92:93], v[82:83], s[38:39]
	v_mul_f64 v[106:107], v[34:35], s[34:35]
	v_fma_f64 v[100:101], v[64:65], s[0:1], v[94:95]
	v_fma_f64 v[94:95], v[64:65], s[0:1], -v[94:95]
	v_add_f64 v[86:87], v[86:87], v[26:27]
	v_fma_f64 v[102:103], v[58:59], s[18:19], -v[96:97]
	v_fma_f64 v[88:89], v[38:39], s[24:25], v[88:89]
	v_add_f64 v[26:27], v[90:91], v[44:45]
	v_fma_f64 v[44:45], v[76:77], s[20:21], -v[92:93]
	v_fma_f64 v[90:91], v[32:33], s[24:25], v[106:107]
	v_mul_f64 v[108:109], v[48:49], s[38:39]
	v_add_f64 v[36:37], v[94:95], v[36:37]
	v_mul_f64 v[94:95], v[42:43], s[4:5]
	v_add_f64 v[28:29], v[102:103], v[28:29]
	v_mul_f64 v[102:103], v[80:81], s[26:27]
	v_fma_f64 v[98:99], v[46:47], s[0:1], v[98:99]
	v_add_f64 v[26:27], v[44:45], v[26:27]
	v_fma_f64 v[44:45], v[32:33], s[24:25], -v[106:107]
	v_add_f64 v[90:91], v[90:91], v[0:1]
	v_add_f64 v[88:89], v[88:89], v[2:3]
	v_fma_f64 v[106:107], v[40:41], s[0:1], v[94:95]
	v_fma_f64 v[94:95], v[40:41], s[0:1], -v[94:95]
	v_fma_f64 v[110:111], v[66:67], s[6:7], -v[102:103]
	v_mul_f64 v[112:113], v[72:73], s[30:31]
	v_mul_f64 v[114:115], v[78:79], s[26:27]
	v_add_f64 v[44:45], v[44:45], v[0:1]
	v_fma_f64 v[92:93], v[76:77], s[20:21], v[92:93]
	v_add_f64 v[88:89], v[98:99], v[88:89]
	v_add_f64 v[90:91], v[106:107], v[90:91]
	v_fma_f64 v[106:107], v[74:75], s[20:21], v[108:109]
	v_add_f64 v[26:27], v[110:111], v[26:27]
	v_fma_f64 v[98:99], v[62:63], s[18:19], -v[112:113]
	v_mul_f64 v[110:111], v[60:61], s[16:17]
	v_add_f64 v[44:45], v[94:95], v[44:45]
	v_fma_f64 v[94:95], v[74:75], s[20:21], -v[108:109]
	v_mul_f64 v[108:109], v[70:71], s[30:31]
	v_add_f64 v[88:89], v[92:93], v[88:89]
	v_add_f64 v[90:91], v[106:107], v[90:91]
	v_fma_f64 v[106:107], v[68:69], s[6:7], v[114:115]
	v_fma_f64 v[92:93], v[66:67], s[6:7], v[102:103]
	v_add_f64 v[30:31], v[100:101], v[30:31]
	v_fma_f64 v[100:101], v[56:57], s[18:19], v[104:105]
	v_add_f64 v[44:45], v[94:95], v[44:45]
	v_fma_f64 v[94:95], v[68:69], s[6:7], -v[114:115]
	v_fma_f64 v[96:97], v[58:59], s[18:19], v[96:97]
	v_fma_f64 v[104:105], v[56:57], s[18:19], -v[104:105]
	v_add_f64 v[98:99], v[98:99], v[26:27]
	v_add_f64 v[90:91], v[106:107], v[90:91]
	v_fma_f64 v[102:103], v[64:65], s[18:19], v[108:109]
	v_fma_f64 v[106:107], v[58:59], s[10:11], -v[110:111]
	v_mul_f64 v[114:115], v[20:21], s[16:17]
	v_add_f64 v[116:117], v[92:93], v[88:89]
	v_fma_f64 v[112:113], v[62:63], s[18:19], v[112:113]
	v_add_f64 v[44:45], v[94:95], v[44:45]
	v_fma_f64 v[94:95], v[64:65], s[18:19], -v[108:109]
	v_add_f64 v[26:27], v[100:101], v[30:31]
	v_add_f64 v[88:89], v[96:97], v[86:87]
	;; [unrolled: 1-line block ×5, first 2 shown]
	v_fma_f64 v[36:37], v[56:57], s[10:11], v[114:115]
	v_add_f64 v[96:97], v[112:113], v[116:117]
	v_add_f64 v[44:45], v[94:95], v[44:45]
	v_fma_f64 v[94:95], v[58:59], s[10:11], v[110:111]
	v_fma_f64 v[98:99], v[56:57], s[10:11], -v[114:115]
	v_mul_f64 v[102:103], v[84:85], s[30:31]
	v_mul_f64 v[106:107], v[34:35], s[30:31]
	;; [unrolled: 1-line block ×4, first 2 shown]
	s_mov_b32 s27, 0xbfddbe06
	v_mul_f64 v[84:85], v[84:85], s[26:27]
	v_add_f64 v[90:91], v[36:37], v[30:31]
	v_add_f64 v[96:97], v[94:95], v[96:97]
	;; [unrolled: 1-line block ×3, first 2 shown]
	v_fma_f64 v[30:31], v[38:39], s[18:19], -v[102:103]
	v_fma_f64 v[36:37], v[38:39], s[18:19], v[102:103]
	v_mul_f64 v[44:45], v[50:51], s[22:23]
	v_fma_f64 v[102:103], v[32:33], s[18:19], v[106:107]
	v_mul_f64 v[108:109], v[42:43], s[22:23]
	v_fma_f64 v[98:99], v[38:39], s[6:7], -v[84:85]
	v_fma_f64 v[38:39], v[38:39], s[6:7], v[84:85]
	v_mul_f64 v[34:35], v[34:35], s[26:27]
	v_fma_f64 v[84:85], v[32:33], s[18:19], -v[106:107]
	v_add_f64 v[30:31], v[30:31], v[2:3]
	v_fma_f64 v[106:107], v[46:47], s[20:21], -v[44:45]
	v_mul_f64 v[110:111], v[82:83], s[4:5]
	v_add_f64 v[102:103], v[102:103], v[0:1]
	v_fma_f64 v[112:113], v[40:41], s[20:21], v[108:109]
	v_mul_f64 v[114:115], v[48:49], s[4:5]
	v_fma_f64 v[116:117], v[32:33], s[6:7], v[34:35]
	v_fma_f64 v[32:33], v[32:33], s[6:7], -v[34:35]
	v_add_f64 v[34:35], v[36:37], v[2:3]
	v_add_f64 v[30:31], v[106:107], v[30:31]
	v_fma_f64 v[36:37], v[76:77], s[0:1], -v[110:111]
	v_mul_f64 v[106:107], v[80:81], s[36:37]
	v_add_f64 v[102:103], v[112:113], v[102:103]
	v_fma_f64 v[112:113], v[74:75], s[0:1], v[114:115]
	v_mul_f64 v[118:119], v[78:79], s[36:37]
	v_mul_f64 v[120:121], v[72:73], s[28:29]
	;; [unrolled: 1-line block ×3, first 2 shown]
	v_add_f64 v[84:85], v[84:85], v[0:1]
	v_add_f64 v[30:31], v[36:37], v[30:31]
	v_fma_f64 v[36:37], v[66:67], s[10:11], -v[106:107]
	v_add_f64 v[116:117], v[116:117], v[0:1]
	v_add_f64 v[102:103], v[112:113], v[102:103]
	v_fma_f64 v[112:113], v[68:69], s[10:11], v[118:119]
	v_add_f64 v[0:1], v[32:33], v[0:1]
	v_fma_f64 v[32:33], v[40:41], s[20:21], -v[108:109]
	v_add_f64 v[98:99], v[98:99], v[2:3]
	v_add_f64 v[2:3], v[38:39], v[2:3]
	v_fma_f64 v[38:39], v[46:47], s[20:21], v[44:45]
	v_add_f64 v[30:31], v[36:37], v[30:31]
	v_fma_f64 v[36:37], v[62:63], s[24:25], -v[120:121]
	v_add_f64 v[44:45], v[112:113], v[102:103]
	v_fma_f64 v[102:103], v[64:65], s[24:25], v[122:123]
	v_mul_f64 v[50:51], v[50:51], s[30:31]
	v_add_f64 v[32:33], v[32:33], v[84:85]
	v_fma_f64 v[84:85], v[74:75], s[0:1], -v[114:115]
	v_mul_f64 v[42:43], v[42:43], s[30:31]
	v_mul_f64 v[82:83], v[82:83], s[34:35]
	v_add_f64 v[30:31], v[36:37], v[30:31]
	v_mul_f64 v[48:49], v[48:49], s[34:35]
	v_add_f64 v[36:37], v[102:103], v[44:45]
	v_fma_f64 v[44:45], v[46:47], s[18:19], v[50:51]
	v_add_f64 v[34:35], v[38:39], v[34:35]
	v_add_f64 v[32:33], v[84:85], v[32:33]
	v_fma_f64 v[84:85], v[40:41], s[18:19], -v[42:43]
	v_fma_f64 v[38:39], v[76:77], s[0:1], v[110:111]
	v_mul_f64 v[80:81], v[80:81], s[22:23]
	v_mul_f64 v[78:79], v[78:79], s[22:23]
	v_fma_f64 v[102:103], v[68:69], s[10:11], -v[118:119]
	v_add_f64 v[2:3], v[44:45], v[2:3]
	v_fma_f64 v[44:45], v[76:77], s[24:25], v[82:83]
	v_fma_f64 v[46:47], v[46:47], s[18:19], -v[50:51]
	v_add_f64 v[0:1], v[84:85], v[0:1]
	v_fma_f64 v[84:85], v[74:75], s[24:25], -v[48:49]
	v_add_f64 v[34:35], v[38:39], v[34:35]
	v_fma_f64 v[38:39], v[66:67], s[10:11], v[106:107]
	v_fma_f64 v[40:41], v[40:41], s[18:19], v[42:43]
	v_fma_f64 v[42:43], v[68:69], s[20:21], -v[78:79]
	v_add_f64 v[2:3], v[44:45], v[2:3]
	v_fma_f64 v[44:45], v[66:67], s[20:21], v[80:81]
	v_mul_f64 v[70:71], v[70:71], s[16:17]
	v_add_f64 v[0:1], v[84:85], v[0:1]
	v_add_f64 v[32:33], v[102:103], v[32:33]
	;; [unrolled: 1-line block ×3, first 2 shown]
	v_fma_f64 v[38:39], v[62:63], s[24:25], v[120:121]
	v_fma_f64 v[102:103], v[64:65], s[24:25], -v[122:123]
	v_mul_f64 v[50:51], v[72:73], s[16:17]
	v_add_f64 v[2:3], v[44:45], v[2:3]
	v_fma_f64 v[44:45], v[76:77], s[24:25], -v[82:83]
	v_add_f64 v[46:47], v[46:47], v[98:99]
	v_fma_f64 v[48:49], v[74:75], s[24:25], v[48:49]
	v_add_f64 v[40:41], v[40:41], v[116:117]
	v_add_f64 v[0:1], v[42:43], v[0:1]
	v_fma_f64 v[42:43], v[64:65], s[10:11], -v[70:71]
	v_fma_f64 v[72:73], v[62:63], s[10:11], v[50:51]
	v_add_f64 v[34:35], v[38:39], v[34:35]
	v_fma_f64 v[38:39], v[66:67], s[20:21], -v[80:81]
	v_add_f64 v[44:45], v[44:45], v[46:47]
	v_add_f64 v[46:47], v[102:103], v[32:33]
	v_fma_f64 v[32:33], v[68:69], s[20:21], v[78:79]
	v_add_f64 v[40:41], v[48:49], v[40:41]
	v_add_f64 v[42:43], v[42:43], v[0:1]
	v_mul_f64 v[0:1], v[60:61], s[4:5]
	v_mul_f64 v[20:21], v[20:21], s[4:5]
	v_add_f64 v[48:49], v[72:73], v[2:3]
	v_fma_f64 v[2:3], v[62:63], s[10:11], -v[50:51]
	v_add_f64 v[38:39], v[38:39], v[44:45]
	v_fma_f64 v[44:45], v[64:65], s[10:11], v[70:71]
	v_add_f64 v[32:33], v[32:33], v[40:41]
	v_fma_f64 v[50:51], v[58:59], s[6:7], v[100:101]
	v_fma_f64 v[60:61], v[58:59], s[0:1], v[0:1]
	;; [unrolled: 1-line block ×3, first 2 shown]
	v_fma_f64 v[64:65], v[56:57], s[0:1], -v[20:21]
	v_fma_f64 v[40:41], v[58:59], s[6:7], -v[100:101]
	;; [unrolled: 1-line block ×4, first 2 shown]
	v_add_f64 v[38:39], v[2:3], v[38:39]
	v_fma_f64 v[20:21], v[56:57], s[0:1], v[20:21]
	v_add_f64 v[44:45], v[44:45], v[32:33]
	v_add_f64 v[0:1], v[62:63], v[36:37]
	;; [unrolled: 1-line block ×9, first 2 shown]
	v_mul_u32_u24_e32 v20, 0xd0, v52
	v_lshlrev_b32_e32 v21, 4, v53
	v_add3_u32 v20, 0, v20, v21
	ds_write_b128 v20, v[4:7]
	ds_write_b128 v20, v[34:37] offset:16
	ds_write_b128 v20, v[30:33] offset:32
	;; [unrolled: 1-line block ×12, first 2 shown]
.LBB0_13:
	s_or_b64 exec, exec, s[2:3]
	s_waitcnt vmcnt(12)
	v_add_u32_e32 v0, -13, v52
	v_cmp_gt_u32_e64 s[0:1], 13, v52
	s_waitcnt vmcnt(9)
	v_cndmask_b32_e64 v51, v0, v52, s[0:1]
	v_mul_i32_i24_e32 v0, 3, v51
	v_mov_b32_e32 v1, 0
	s_waitcnt vmcnt(0)
	v_lshlrev_b64 v[4:5], 4, v[0:1]
	v_mov_b32_e32 v6, s9
	v_add_co_u32_e64 v4, s[0:1], s8, v4
	v_addc_co_u32_e64 v5, s[0:1], v6, v5, s[0:1]
	v_add_u32_e32 v3, 26, v52
	s_movk_i32 s0, 0x4f
	v_mul_lo_u16_sdwa v0, v3, s0 dst_sel:DWORD dst_unused:UNUSED_PAD src0_sel:BYTE_0 src1_sel:DWORD
	v_lshrrev_b16_e32 v0, 10, v0
	v_mul_lo_u16_e32 v15, 13, v0
	s_waitcnt lgkmcnt(0)
	; wave barrier
	s_waitcnt lgkmcnt(0)
	global_load_dwordx4 v[7:10], v[4:5], off offset:16
	global_load_dwordx4 v[11:14], v[4:5], off
	v_sub_u16_e32 v108, v3, v15
	v_mov_b32_e32 v31, 3
	v_add_u32_e32 v2, 52, v52
	v_mul_u32_u24_sdwa v15, v108, v31 dst_sel:DWORD dst_unused:UNUSED_PAD src0_sel:BYTE_0 src1_sel:DWORD
	v_lshlrev_b32_e32 v32, 4, v15
	global_load_dwordx4 v[15:18], v[4:5], off offset:32
	global_load_dwordx4 v[19:22], v32, s[8:9]
	global_load_dwordx4 v[23:26], v32, s[8:9] offset:32
	global_load_dwordx4 v[27:30], v32, s[8:9] offset:16
	v_mul_lo_u16_sdwa v4, v2, s0 dst_sel:DWORD dst_unused:UNUSED_PAD src0_sel:BYTE_0 src1_sel:DWORD
	v_lshrrev_b16_e32 v109, 10, v4
	v_mul_lo_u16_e32 v4, 13, v109
	v_sub_u16_e32 v110, v2, v4
	v_mul_u32_u24_sdwa v4, v110, v31 dst_sel:DWORD dst_unused:UNUSED_PAD src0_sel:BYTE_0 src1_sel:DWORD
	v_lshlrev_b32_e32 v4, 4, v4
	global_load_dwordx4 v[31:34], v4, s[8:9]
	global_load_dwordx4 v[35:38], v4, s[8:9] offset:16
	global_load_dwordx4 v[39:42], v4, s[8:9] offset:32
	v_lshlrev_b32_e32 v53, 4, v53
	v_lshlrev_b32_e32 v4, 4, v52
	v_add3_u32 v5, 0, v53, v4
	v_add3_u32 v4, 0, v4, v53
	ds_read_b128 v[43:46], v5
	ds_read_b128 v[47:50], v4 offset:416
	ds_read_b128 v[56:59], v4 offset:2496
	;; [unrolled: 1-line block ×11, first 2 shown]
	v_cmp_lt_u32_e64 s[0:1], 12, v52
	v_lshlrev_b32_e32 v51, 4, v51
	s_waitcnt lgkmcnt(0)
	; wave barrier
	s_waitcnt lgkmcnt(0)
	s_movk_i32 s2, 0x340
	v_mad_u32_u24 v0, v0, s2, 0
	s_mov_b32 s3, 0xbfebb67a
	s_waitcnt vmcnt(8)
	v_mul_f64 v[98:99], v[58:59], v[9:10]
	s_waitcnt vmcnt(7)
	v_mul_f64 v[96:97], v[66:67], v[13:14]
	v_mul_f64 v[13:14], v[64:65], v[13:14]
	;; [unrolled: 1-line block ×3, first 2 shown]
	s_waitcnt vmcnt(6)
	v_mul_f64 v[100:101], v[82:83], v[17:18]
	v_mul_f64 v[17:18], v[80:81], v[17:18]
	s_waitcnt vmcnt(5)
	v_mul_f64 v[102:103], v[74:75], v[21:22]
	v_mul_f64 v[21:22], v[72:73], v[21:22]
	s_waitcnt vmcnt(3)
	v_mul_f64 v[104:105], v[62:63], v[29:30]
	v_mul_f64 v[29:30], v[60:61], v[29:30]
	v_mul_f64 v[106:107], v[90:91], v[25:26]
	v_mul_f64 v[25:26], v[88:89], v[25:26]
	v_fma_f64 v[64:65], v[64:65], v[11:12], -v[96:97]
	v_fma_f64 v[11:12], v[66:67], v[11:12], v[13:14]
	s_waitcnt vmcnt(2)
	v_mul_f64 v[13:14], v[78:79], v[33:34]
	v_mul_f64 v[33:34], v[76:77], v[33:34]
	s_waitcnt vmcnt(1)
	v_mul_f64 v[66:67], v[86:87], v[37:38]
	v_mul_f64 v[37:38], v[84:85], v[37:38]
	v_fma_f64 v[56:57], v[56:57], v[7:8], -v[98:99]
	v_fma_f64 v[7:8], v[58:59], v[7:8], v[9:10]
	s_waitcnt vmcnt(0)
	v_mul_f64 v[9:10], v[94:95], v[41:42]
	v_mul_f64 v[41:42], v[92:93], v[41:42]
	v_fma_f64 v[58:59], v[80:81], v[15:16], -v[100:101]
	v_fma_f64 v[15:16], v[82:83], v[15:16], v[17:18]
	v_fma_f64 v[17:18], v[72:73], v[19:20], -v[102:103]
	v_fma_f64 v[19:20], v[74:75], v[19:20], v[21:22]
	v_fma_f64 v[21:22], v[60:61], v[27:28], -v[104:105]
	v_fma_f64 v[27:28], v[62:63], v[27:28], v[29:30]
	v_fma_f64 v[29:30], v[88:89], v[23:24], -v[106:107]
	v_fma_f64 v[23:24], v[90:91], v[23:24], v[25:26]
	v_fma_f64 v[25:26], v[76:77], v[31:32], -v[13:14]
	v_fma_f64 v[31:32], v[78:79], v[31:32], v[33:34]
	v_fma_f64 v[13:14], v[84:85], v[35:36], -v[66:67]
	v_fma_f64 v[33:34], v[86:87], v[35:36], v[37:38]
	v_fma_f64 v[9:10], v[92:93], v[39:40], -v[9:10]
	v_fma_f64 v[35:36], v[94:95], v[39:40], v[41:42]
	v_add_f64 v[37:38], v[43:44], -v[56:57]
	v_add_f64 v[41:42], v[64:65], -v[58:59]
	;; [unrolled: 1-line block ×12, first 2 shown]
	v_fma_f64 v[29:30], v[43:44], 2.0, -v[37:38]
	v_fma_f64 v[23:24], v[64:65], 2.0, -v[41:42]
	;; [unrolled: 1-line block ×4, first 2 shown]
	v_add_f64 v[9:10], v[39:40], v[41:42]
	v_fma_f64 v[41:42], v[47:48], 2.0, -v[56:57]
	v_fma_f64 v[43:44], v[49:50], 2.0, -v[58:59]
	;; [unrolled: 1-line block ×4, first 2 shown]
	v_add_f64 v[13:14], v[58:59], v[15:16]
	v_fma_f64 v[49:50], v[68:69], 2.0, -v[60:61]
	v_fma_f64 v[64:65], v[70:71], 2.0, -v[62:63]
	;; [unrolled: 1-line block ×3, first 2 shown]
	v_add_f64 v[15:16], v[29:30], -v[23:24]
	v_fma_f64 v[70:71], v[31:32], 2.0, -v[35:36]
	v_add_f64 v[7:8], v[37:38], -v[7:8]
	v_add_f64 v[17:18], v[33:34], -v[27:28]
	;; [unrolled: 1-line block ×7, first 2 shown]
	v_fma_f64 v[31:32], v[29:30], 2.0, -v[15:16]
	v_add_f64 v[29:30], v[64:65], -v[70:71]
	v_fma_f64 v[19:20], v[37:38], 2.0, -v[7:8]
	v_add_f64 v[37:38], v[62:63], v[66:67]
	v_fma_f64 v[33:34], v[33:34], 2.0, -v[17:18]
	v_fma_f64 v[21:22], v[39:40], 2.0, -v[9:10]
	;; [unrolled: 1-line block ×7, first 2 shown]
	v_mov_b32_e32 v60, 0x340
	v_fma_f64 v[47:48], v[49:50], 2.0, -v[27:28]
	v_fma_f64 v[49:50], v[64:65], 2.0, -v[29:30]
	v_cndmask_b32_e64 v60, 0, v60, s[0:1]
	v_fma_f64 v[58:59], v[62:63], 2.0, -v[37:38]
	v_add_u32_e32 v60, 0, v60
	v_add3_u32 v51, v60, v51, v53
	ds_write_b128 v51, v[31:34]
	ds_write_b128 v51, v[19:22] offset:208
	ds_write_b128 v51, v[15:18] offset:416
	;; [unrolled: 1-line block ×3, first 2 shown]
	v_mov_b32_e32 v7, 4
	v_lshlrev_b32_sdwa v8, v7, v108 dst_sel:DWORD dst_unused:UNUSED_PAD src0_sel:DWORD src1_sel:BYTE_0
	v_add3_u32 v0, v0, v8, v53
	ds_write_b128 v0, v[39:42]
	ds_write_b128 v0, v[43:46] offset:208
	ds_write_b128 v0, v[23:26] offset:416
	;; [unrolled: 1-line block ×3, first 2 shown]
	v_mad_u32_u24 v0, v109, s2, 0
	v_lshlrev_b32_sdwa v7, v7, v110 dst_sel:DWORD dst_unused:UNUSED_PAD src0_sel:DWORD src1_sel:BYTE_0
	v_add3_u32 v0, v0, v7, v53
	ds_write_b128 v0, v[47:50]
	ds_write_b128 v0, v[56:59] offset:208
	ds_write_b128 v0, v[27:30] offset:416
	;; [unrolled: 1-line block ×3, first 2 shown]
	v_lshlrev_b32_e32 v0, 1, v52
	v_lshlrev_b64 v[7:8], 4, v[0:1]
	s_waitcnt lgkmcnt(0)
	v_add_co_u32_e64 v15, s[0:1], s8, v7
	v_addc_co_u32_e64 v16, s[0:1], v6, v8, s[0:1]
	; wave barrier
	global_load_dwordx4 v[7:10], v[15:16], off offset:640
	global_load_dwordx4 v[11:14], v[15:16], off offset:624
	v_lshlrev_b32_e32 v0, 1, v3
	v_lshlrev_b64 v[15:16], 4, v[0:1]
	v_add_co_u32_e64 v23, s[0:1], s8, v15
	v_addc_co_u32_e64 v24, s[0:1], v6, v16, s[0:1]
	global_load_dwordx4 v[15:18], v[23:24], off offset:624
	global_load_dwordx4 v[19:22], v[23:24], off offset:640
	ds_read_b128 v[23:26], v5
	ds_read_b128 v[27:30], v4 offset:416
	ds_read_b128 v[31:34], v4 offset:1664
	;; [unrolled: 1-line block ×11, first 2 shown]
	s_mov_b32 s0, 0xe8584caa
	s_mov_b32 s1, 0x3febb67a
	;; [unrolled: 1-line block ×3, first 2 shown]
	s_waitcnt lgkmcnt(0)
	; wave barrier
	s_waitcnt vmcnt(3) lgkmcnt(0)
	v_mul_f64 v[80:81], v[41:42], v[9:10]
	s_waitcnt vmcnt(2)
	v_mul_f64 v[76:77], v[33:34], v[13:14]
	v_mul_f64 v[78:79], v[31:32], v[13:14]
	;; [unrolled: 1-line block ×7, first 2 shown]
	s_waitcnt vmcnt(1)
	v_mul_f64 v[84:85], v[37:38], v[17:18]
	s_waitcnt vmcnt(0)
	v_mul_f64 v[88:89], v[45:46], v[21:22]
	v_mul_f64 v[86:87], v[35:36], v[17:18]
	;; [unrolled: 1-line block ×3, first 2 shown]
	v_fma_f64 v[31:32], v[31:32], v[11:12], -v[76:77]
	v_fma_f64 v[33:34], v[33:34], v[11:12], v[78:79]
	v_fma_f64 v[39:40], v[39:40], v[7:8], -v[80:81]
	v_fma_f64 v[41:42], v[41:42], v[7:8], v[82:83]
	v_mul_f64 v[96:97], v[66:67], v[17:18]
	v_mul_f64 v[17:18], v[64:65], v[17:18]
	v_fma_f64 v[35:36], v[35:36], v[15:16], -v[84:85]
	v_fma_f64 v[43:44], v[43:44], v[19:20], -v[88:89]
	v_mul_f64 v[98:99], v[74:75], v[21:22]
	v_mul_f64 v[21:22], v[72:73], v[21:22]
	v_fma_f64 v[37:38], v[37:38], v[15:16], v[86:87]
	v_fma_f64 v[45:46], v[45:46], v[19:20], v[90:91]
	v_fma_f64 v[60:61], v[60:61], v[11:12], -v[92:93]
	v_fma_f64 v[62:63], v[62:63], v[11:12], v[13:14]
	v_fma_f64 v[68:69], v[68:69], v[7:8], -v[94:95]
	v_fma_f64 v[70:71], v[70:71], v[7:8], v[9:10]
	v_add_f64 v[6:7], v[31:32], v[39:40]
	v_add_f64 v[8:9], v[33:34], v[41:42]
	;; [unrolled: 1-line block ×3, first 2 shown]
	v_fma_f64 v[64:65], v[64:65], v[15:16], -v[96:97]
	v_fma_f64 v[66:67], v[66:67], v[15:16], v[17:18]
	v_add_f64 v[16:17], v[35:36], v[43:44]
	v_fma_f64 v[72:73], v[72:73], v[19:20], -v[98:99]
	v_fma_f64 v[74:75], v[74:75], v[19:20], v[21:22]
	v_add_f64 v[12:13], v[33:34], -v[41:42]
	v_add_f64 v[14:15], v[25:26], v[33:34]
	v_fma_f64 v[18:19], v[6:7], -0.5, v[23:24]
	v_add_f64 v[20:21], v[31:32], -v[39:40]
	v_fma_f64 v[24:25], v[8:9], -0.5, v[25:26]
	v_add_f64 v[31:32], v[37:38], v[45:46]
	v_add_f64 v[6:7], v[10:11], v[39:40]
	;; [unrolled: 1-line block ×4, first 2 shown]
	v_fma_f64 v[26:27], v[16:17], -0.5, v[27:28]
	v_add_f64 v[33:34], v[37:38], -v[45:46]
	v_add_f64 v[8:9], v[14:15], v[41:42]
	v_fma_f64 v[10:11], v[12:13], s[0:1], v[18:19]
	v_fma_f64 v[14:15], v[12:13], s[2:3], v[18:19]
	;; [unrolled: 1-line block ×4, first 2 shown]
	v_add_f64 v[20:21], v[29:30], v[37:38]
	v_fma_f64 v[28:29], v[31:32], -0.5, v[29:30]
	v_add_f64 v[30:31], v[35:36], -v[43:44]
	v_add_f64 v[35:36], v[47:48], v[60:61]
	v_fma_f64 v[37:38], v[39:40], -0.5, v[47:48]
	v_add_f64 v[39:40], v[62:63], -v[70:71]
	v_add_f64 v[18:19], v[22:23], v[43:44]
	v_fma_f64 v[22:23], v[33:34], s[0:1], v[26:27]
	v_fma_f64 v[26:27], v[33:34], s[2:3], v[26:27]
	v_add_f64 v[32:33], v[62:63], v[70:71]
	v_fma_f64 v[24:25], v[30:31], s[2:3], v[28:29]
	v_fma_f64 v[28:29], v[30:31], s[0:1], v[28:29]
	v_add_f64 v[30:31], v[35:36], v[68:69]
	v_add_f64 v[41:42], v[64:65], v[72:73]
	v_fma_f64 v[34:35], v[39:40], s[0:1], v[37:38]
	v_fma_f64 v[38:39], v[39:40], s[2:3], v[37:38]
	v_add_f64 v[36:37], v[66:67], v[74:75]
	v_add_f64 v[43:44], v[49:50], v[62:63]
	;; [unrolled: 1-line block ×3, first 2 shown]
	v_fma_f64 v[45:46], v[32:33], -0.5, v[49:50]
	v_add_f64 v[47:48], v[60:61], -v[68:69]
	v_add_f64 v[49:50], v[56:57], v[64:65]
	v_fma_f64 v[56:57], v[41:42], -0.5, v[56:57]
	v_add_f64 v[60:61], v[66:67], -v[74:75]
	v_add_f64 v[62:63], v[58:59], v[66:67]
	;; [unrolled: 3-line block ×3, first 2 shown]
	v_fma_f64 v[36:37], v[47:48], s[2:3], v[45:46]
	v_fma_f64 v[40:41], v[47:48], s[0:1], v[45:46]
	v_add_f64 v[42:43], v[49:50], v[72:73]
	v_fma_f64 v[46:47], v[60:61], s[0:1], v[56:57]
	v_fma_f64 v[56:57], v[60:61], s[2:3], v[56:57]
	v_add_f64 v[44:45], v[62:63], v[74:75]
	v_fma_f64 v[48:49], v[64:65], s[2:3], v[58:59]
	v_fma_f64 v[58:59], v[64:65], s[0:1], v[58:59]
	ds_write_b128 v4, v[6:9]
	ds_write_b128 v4, v[10:13] offset:832
	ds_write_b128 v4, v[14:17] offset:1664
	ds_write_b128 v4, v[18:21] offset:416
	ds_write_b128 v4, v[22:25] offset:1248
	ds_write_b128 v4, v[26:29] offset:2080
	ds_write_b128 v4, v[30:33] offset:2496
	ds_write_b128 v4, v[34:37] offset:3328
	ds_write_b128 v4, v[38:41] offset:4160
	ds_write_b128 v4, v[42:45] offset:2912
	ds_write_b128 v4, v[46:49] offset:3744
	ds_write_b128 v4, v[56:59] offset:4576
	s_waitcnt lgkmcnt(0)
	; wave barrier
	s_waitcnt lgkmcnt(0)
	s_and_saveexec_b64 s[0:1], vcc
	s_cbranch_execz .LBB0_15
; %bb.14:
	v_mov_b32_e32 v53, v1
	v_lshlrev_b64 v[0:1], 4, v[52:53]
	v_mov_b32_e32 v6, s9
	v_add_co_u32_e32 v0, vcc, s8, v0
	v_addc_co_u32_e32 v1, vcc, v6, v1, vcc
	global_load_dwordx4 v[6:9], v[0:1], off offset:3536
	global_load_dwordx4 v[10:13], v[0:1], off offset:3120
	;; [unrolled: 1-line block ×4, first 2 shown]
	v_add_co_u32_e32 v30, vcc, 0x1000, v0
	v_addc_co_u32_e32 v31, vcc, 0, v1, vcc
	global_load_dwordx4 v[22:25], v[30:31], off offset:272
	global_load_dwordx4 v[26:29], v[0:1], off offset:3952
	v_mad_u64_u32 v[0:1], s[0:1], s12, v52, 0
	v_mov_b32_e32 v50, s15
	v_add_u32_e32 v84, 0x9c, v52
	v_add_co_u32_e32 v95, vcc, s14, v54
	v_addc_co_u32_e32 v96, vcc, v50, v55, vcc
	v_mad_u64_u32 v[50:51], s[2:3], s12, v84, 0
	ds_read_b128 v[30:33], v4 offset:2080
	ds_read_b128 v[34:37], v4 offset:1664
	;; [unrolled: 1-line block ×9, first 2 shown]
	ds_read_b128 v[72:75], v5
	ds_read_b128 v[76:79], v4 offset:2912
	ds_read_b128 v[80:83], v4 offset:2496
	v_mad_u64_u32 v[4:5], s[2:3], s12, v3, 0
	v_mad_u64_u32 v[53:54], s[2:3], s13, v52, v[1:2]
	v_mov_b32_e32 v1, v51
	v_mad_u64_u32 v[84:85], s[2:3], s13, v84, v[1:2]
	v_mov_b32_e32 v1, v53
	v_lshlrev_b64 v[0:1], 4, v[0:1]
	v_mov_b32_e32 v51, v84
	v_add_co_u32_e32 v0, vcc, v95, v0
	v_addc_co_u32_e32 v1, vcc, v96, v1, vcc
	v_add_u32_e32 v94, 0xb6, v52
	s_mov_b32 s1, 0x34834835
	s_movk_i32 s0, 0x9c
	s_waitcnt vmcnt(3) lgkmcnt(1)
	v_mul_f64 v[86:87], v[14:15], v[78:79]
	v_mad_u64_u32 v[54:55], s[2:3], s13, v3, v[5:6]
	s_waitcnt vmcnt(2) lgkmcnt(0)
	v_mul_f64 v[88:89], v[18:19], v[82:83]
	v_mul_f64 v[82:83], v[20:21], v[82:83]
	v_mov_b32_e32 v5, v54
	v_lshlrev_b64 v[84:85], 4, v[4:5]
	v_lshlrev_b64 v[3:4], 4, v[50:51]
	v_mul_f64 v[53:54], v[8:9], v[62:63]
	v_add_co_u32_e32 v50, vcc, v95, v3
	v_addc_co_u32_e32 v51, vcc, v96, v4, vcc
	v_mul_f64 v[3:4], v[6:7], v[62:63]
	v_mul_f64 v[62:63], v[10:11], v[66:67]
	;; [unrolled: 1-line block ×4, first 2 shown]
	s_waitcnt vmcnt(1)
	v_mul_f64 v[90:91], v[22:23], v[40:41]
	v_mul_f64 v[40:41], v[24:25], v[40:41]
	s_waitcnt vmcnt(0)
	v_mul_f64 v[92:93], v[26:27], v[44:45]
	v_mul_f64 v[44:45], v[28:29], v[44:45]
	v_fma_f64 v[3:4], v[8:9], v[60:61], v[3:4]
	v_fma_f64 v[7:8], v[60:61], v[6:7], -v[53:54]
	v_fma_f64 v[12:13], v[12:13], v[64:65], v[62:63]
	v_fma_f64 v[16:17], v[16:17], v[76:77], v[86:87]
	;; [unrolled: 1-line block ×3, first 2 shown]
	v_fma_f64 v[62:63], v[80:81], v[18:19], -v[82:83]
	v_fma_f64 v[53:54], v[64:65], v[10:11], -v[66:67]
	;; [unrolled: 1-line block ×3, first 2 shown]
	v_fma_f64 v[24:25], v[24:25], v[38:39], v[90:91]
	v_fma_f64 v[38:39], v[38:39], v[22:23], -v[40:41]
	v_fma_f64 v[40:41], v[42:43], v[26:27], -v[44:45]
	v_add_f64 v[5:6], v[48:49], -v[3:4]
	v_add_f64 v[3:4], v[46:47], -v[7:8]
	;; [unrolled: 1-line block ×9, first 2 shown]
	v_fma_f64 v[40:41], v[48:49], 2.0, -v[5:6]
	v_fma_f64 v[38:39], v[46:47], 2.0, -v[3:4]
	v_add_f64 v[7:8], v[56:57], -v[53:54]
	v_fma_f64 v[48:49], v[74:75], 2.0, -v[17:18]
	v_fma_f64 v[46:47], v[72:73], 2.0, -v[15:16]
	v_add_f64 v[11:12], v[68:69], -v[60:61]
	global_store_dwordx4 v[0:1], v[46:49], off
	global_store_dwordx4 v[50:51], v[15:18], off
	v_mad_u64_u32 v[0:1], s[2:3], s12, v94, 0
	v_fma_f64 v[28:29], v[28:29], v[42:43], v[92:93]
	v_fma_f64 v[42:43], v[56:57], 2.0, -v[7:8]
	v_mad_u64_u32 v[17:18], s[2:3], s13, v94, v[1:2]
	v_fma_f64 v[55:56], v[70:71], 2.0, -v[13:14]
	v_fma_f64 v[53:54], v[68:69], 2.0, -v[11:12]
	v_mov_b32_e32 v1, v17
	v_add_co_u32_e32 v15, vcc, v95, v84
	v_add_f64 v[25:26], v[36:37], -v[28:29]
	v_mad_u64_u32 v[27:28], s[2:3], s12, v2, 0
	v_lshlrev_b64 v[0:1], 4, v[0:1]
	v_addc_co_u32_e32 v16, vcc, v96, v85, vcc
	v_add_co_u32_e32 v0, vcc, v95, v0
	v_addc_co_u32_e32 v1, vcc, v96, v1, vcc
	global_store_dwordx4 v[15:16], v[53:56], off
	v_mov_b32_e32 v15, v28
	global_store_dwordx4 v[0:1], v[11:14], off
	v_mad_u64_u32 v[15:16], s[2:3], s13, v2, v[15:16]
	v_add_u32_e32 v13, 0xd0, v52
	v_mad_u64_u32 v[11:12], s[2:3], s12, v13, 0
	v_fma_f64 v[44:45], v[58:59], 2.0, -v[9:10]
	v_mov_b32_e32 v28, v15
	v_mov_b32_e32 v2, v12
	v_lshlrev_b64 v[0:1], 4, v[27:28]
	v_mad_u64_u32 v[12:13], s[2:3], s13, v13, v[2:3]
	v_add_u32_e32 v15, 0x4e, v52
	v_add_co_u32_e32 v0, vcc, v95, v0
	v_mad_u64_u32 v[13:14], s[2:3], s12, v15, 0
	v_addc_co_u32_e32 v1, vcc, v96, v1, vcc
	global_store_dwordx4 v[0:1], v[42:45], off
	v_lshlrev_b64 v[0:1], 4, v[11:12]
	v_mov_b32_e32 v2, v14
	v_add_co_u32_e32 v0, vcc, v95, v0
	v_mad_u64_u32 v[11:12], s[2:3], s13, v15, v[2:3]
	v_addc_co_u32_e32 v1, vcc, v96, v1, vcc
	v_add_u32_e32 v2, 0x68, v52
	global_store_dwordx4 v[0:1], v[7:10], off
	v_mov_b32_e32 v14, v11
	v_lshrrev_b32_e32 v9, 2, v2
	v_mul_hi_u32 v9, v9, s1
	v_add_u32_e32 v11, 0xea, v52
	v_mad_u64_u32 v[7:8], s[2:3], s12, v11, 0
	v_lshrrev_b32_e32 v9, 3, v9
	v_mad_u64_u32 v[9:10], s[2:3], v9, s0, v[2:3]
	v_lshlrev_b64 v[0:1], 4, v[13:14]
	v_fma_f64 v[36:37], v[36:37], 2.0, -v[25:26]
	v_mad_u64_u32 v[10:11], s[2:3], s13, v11, v[8:9]
	v_mad_u64_u32 v[11:12], s[2:3], s12, v9, 0
	v_add_co_u32_e32 v0, vcc, v95, v0
	v_addc_co_u32_e32 v1, vcc, v96, v1, vcc
	v_mov_b32_e32 v8, v10
	v_mov_b32_e32 v2, v12
	global_store_dwordx4 v[0:1], v[38:41], off
	v_lshlrev_b64 v[0:1], 4, v[7:8]
	v_mad_u64_u32 v[7:8], s[2:3], s13, v9, v[2:3]
	v_fma_f64 v[34:35], v[34:35], 2.0, -v[23:24]
	v_add_co_u32_e32 v0, vcc, v95, v0
	v_addc_co_u32_e32 v1, vcc, v96, v1, vcc
	v_mov_b32_e32 v12, v7
	global_store_dwordx4 v[0:1], v[3:6], off
	v_lshlrev_b64 v[0:1], 4, v[11:12]
	v_add_u32_e32 v3, 0x9c, v9
	v_add_co_u32_e32 v0, vcc, v95, v0
	v_addc_co_u32_e32 v1, vcc, v96, v1, vcc
	global_store_dwordx4 v[0:1], v[34:37], off
	v_mad_u64_u32 v[0:1], s[2:3], s12, v3, 0
	v_add_u32_e32 v2, 0x82, v52
	v_lshrrev_b32_e32 v4, 2, v2
	v_mul_hi_u32 v5, v4, s1
	v_mad_u64_u32 v[3:4], s[2:3], s13, v3, v[1:2]
	v_fma_f64 v[32:33], v[32:33], 2.0, -v[21:22]
	v_lshrrev_b32_e32 v1, 3, v5
	v_mad_u64_u32 v[4:5], s[0:1], v1, s0, v[2:3]
	v_mov_b32_e32 v1, v3
	v_lshlrev_b64 v[0:1], 4, v[0:1]
	v_mad_u64_u32 v[2:3], s[0:1], s12, v4, 0
	v_fma_f64 v[30:31], v[30:31], 2.0, -v[19:20]
	v_add_co_u32_e32 v0, vcc, v95, v0
	v_mad_u64_u32 v[5:6], s[0:1], s13, v4, v[3:4]
	v_add_u32_e32 v4, 0x9c, v4
	v_mad_u64_u32 v[6:7], s[0:1], s12, v4, 0
	v_addc_co_u32_e32 v1, vcc, v96, v1, vcc
	v_mov_b32_e32 v3, v5
	global_store_dwordx4 v[0:1], v[23:26], off
	v_lshlrev_b64 v[0:1], 4, v[2:3]
	v_mov_b32_e32 v2, v7
	v_mad_u64_u32 v[2:3], s[0:1], s13, v4, v[2:3]
	v_add_co_u32_e32 v0, vcc, v95, v0
	v_addc_co_u32_e32 v1, vcc, v96, v1, vcc
	v_mov_b32_e32 v7, v2
	global_store_dwordx4 v[0:1], v[30:33], off
	v_lshlrev_b64 v[0:1], 4, v[6:7]
	v_add_co_u32_e32 v0, vcc, v95, v0
	v_addc_co_u32_e32 v1, vcc, v96, v1, vcc
	global_store_dwordx4 v[0:1], v[19:22], off
.LBB0_15:
	s_endpgm
	.section	.rodata,"a",@progbits
	.p2align	6, 0x0
	.amdhsa_kernel fft_rtc_fwd_len312_factors_13_4_3_2_wgs_52_tpt_26_dp_ip_CI_sbrr_dirReg
		.amdhsa_group_segment_fixed_size 0
		.amdhsa_private_segment_fixed_size 0
		.amdhsa_kernarg_size 88
		.amdhsa_user_sgpr_count 6
		.amdhsa_user_sgpr_private_segment_buffer 1
		.amdhsa_user_sgpr_dispatch_ptr 0
		.amdhsa_user_sgpr_queue_ptr 0
		.amdhsa_user_sgpr_kernarg_segment_ptr 1
		.amdhsa_user_sgpr_dispatch_id 0
		.amdhsa_user_sgpr_flat_scratch_init 0
		.amdhsa_user_sgpr_private_segment_size 0
		.amdhsa_uses_dynamic_stack 0
		.amdhsa_system_sgpr_private_segment_wavefront_offset 0
		.amdhsa_system_sgpr_workgroup_id_x 1
		.amdhsa_system_sgpr_workgroup_id_y 0
		.amdhsa_system_sgpr_workgroup_id_z 0
		.amdhsa_system_sgpr_workgroup_info 0
		.amdhsa_system_vgpr_workitem_id 0
		.amdhsa_next_free_vgpr 124
		.amdhsa_next_free_sgpr 42
		.amdhsa_reserve_vcc 1
		.amdhsa_reserve_flat_scratch 0
		.amdhsa_float_round_mode_32 0
		.amdhsa_float_round_mode_16_64 0
		.amdhsa_float_denorm_mode_32 3
		.amdhsa_float_denorm_mode_16_64 3
		.amdhsa_dx10_clamp 1
		.amdhsa_ieee_mode 1
		.amdhsa_fp16_overflow 0
		.amdhsa_exception_fp_ieee_invalid_op 0
		.amdhsa_exception_fp_denorm_src 0
		.amdhsa_exception_fp_ieee_div_zero 0
		.amdhsa_exception_fp_ieee_overflow 0
		.amdhsa_exception_fp_ieee_underflow 0
		.amdhsa_exception_fp_ieee_inexact 0
		.amdhsa_exception_int_div_zero 0
	.end_amdhsa_kernel
	.text
.Lfunc_end0:
	.size	fft_rtc_fwd_len312_factors_13_4_3_2_wgs_52_tpt_26_dp_ip_CI_sbrr_dirReg, .Lfunc_end0-fft_rtc_fwd_len312_factors_13_4_3_2_wgs_52_tpt_26_dp_ip_CI_sbrr_dirReg
                                        ; -- End function
	.section	.AMDGPU.csdata,"",@progbits
; Kernel info:
; codeLenInByte = 9232
; NumSgprs: 46
; NumVgprs: 124
; ScratchSize: 0
; MemoryBound: 1
; FloatMode: 240
; IeeeMode: 1
; LDSByteSize: 0 bytes/workgroup (compile time only)
; SGPRBlocks: 5
; VGPRBlocks: 30
; NumSGPRsForWavesPerEU: 46
; NumVGPRsForWavesPerEU: 124
; Occupancy: 2
; WaveLimiterHint : 1
; COMPUTE_PGM_RSRC2:SCRATCH_EN: 0
; COMPUTE_PGM_RSRC2:USER_SGPR: 6
; COMPUTE_PGM_RSRC2:TRAP_HANDLER: 0
; COMPUTE_PGM_RSRC2:TGID_X_EN: 1
; COMPUTE_PGM_RSRC2:TGID_Y_EN: 0
; COMPUTE_PGM_RSRC2:TGID_Z_EN: 0
; COMPUTE_PGM_RSRC2:TIDIG_COMP_CNT: 0
	.type	__hip_cuid_97e4508cf4a6f467,@object ; @__hip_cuid_97e4508cf4a6f467
	.section	.bss,"aw",@nobits
	.globl	__hip_cuid_97e4508cf4a6f467
__hip_cuid_97e4508cf4a6f467:
	.byte	0                               ; 0x0
	.size	__hip_cuid_97e4508cf4a6f467, 1

	.ident	"AMD clang version 19.0.0git (https://github.com/RadeonOpenCompute/llvm-project roc-6.4.0 25133 c7fe45cf4b819c5991fe208aaa96edf142730f1d)"
	.section	".note.GNU-stack","",@progbits
	.addrsig
	.addrsig_sym __hip_cuid_97e4508cf4a6f467
	.amdgpu_metadata
---
amdhsa.kernels:
  - .args:
      - .actual_access:  read_only
        .address_space:  global
        .offset:         0
        .size:           8
        .value_kind:     global_buffer
      - .offset:         8
        .size:           8
        .value_kind:     by_value
      - .actual_access:  read_only
        .address_space:  global
        .offset:         16
        .size:           8
        .value_kind:     global_buffer
      - .actual_access:  read_only
        .address_space:  global
        .offset:         24
        .size:           8
        .value_kind:     global_buffer
      - .offset:         32
        .size:           8
        .value_kind:     by_value
      - .actual_access:  read_only
        .address_space:  global
        .offset:         40
        .size:           8
        .value_kind:     global_buffer
      - .actual_access:  read_only
        .address_space:  global
        .offset:         48
        .size:           8
        .value_kind:     global_buffer
      - .offset:         56
        .size:           4
        .value_kind:     by_value
      - .actual_access:  read_only
        .address_space:  global
        .offset:         64
        .size:           8
        .value_kind:     global_buffer
      - .actual_access:  read_only
        .address_space:  global
        .offset:         72
        .size:           8
        .value_kind:     global_buffer
      - .address_space:  global
        .offset:         80
        .size:           8
        .value_kind:     global_buffer
    .group_segment_fixed_size: 0
    .kernarg_segment_align: 8
    .kernarg_segment_size: 88
    .language:       OpenCL C
    .language_version:
      - 2
      - 0
    .max_flat_workgroup_size: 52
    .name:           fft_rtc_fwd_len312_factors_13_4_3_2_wgs_52_tpt_26_dp_ip_CI_sbrr_dirReg
    .private_segment_fixed_size: 0
    .sgpr_count:     46
    .sgpr_spill_count: 0
    .symbol:         fft_rtc_fwd_len312_factors_13_4_3_2_wgs_52_tpt_26_dp_ip_CI_sbrr_dirReg.kd
    .uniform_work_group_size: 1
    .uses_dynamic_stack: false
    .vgpr_count:     124
    .vgpr_spill_count: 0
    .wavefront_size: 64
amdhsa.target:   amdgcn-amd-amdhsa--gfx906
amdhsa.version:
  - 1
  - 2
...

	.end_amdgpu_metadata
